;; amdgpu-corpus repo=zjin-lcf/HeCBench kind=compiled arch=gfx1100 opt=O3
	.text
	.amdgcn_target "amdgcn-amd-amdhsa--gfx1100"
	.amdhsa_code_object_version 6
	.protected	_Z10base64_encPKhPhcmj  ; -- Begin function _Z10base64_encPKhPhcmj
	.globl	_Z10base64_encPKhPhcmj
	.p2align	8
	.type	_Z10base64_encPKhPhcmj,@function
_Z10base64_encPKhPhcmj:                 ; @_Z10base64_encPKhPhcmj
; %bb.0:
	s_clause 0x2
	s_load_b32 s4, s[0:1], 0x34
	s_load_b32 s5, s[0:1], 0x20
	s_load_b64 s[2:3], s[0:1], 0x18
	v_mov_b32_e32 v1, 0
	s_waitcnt lgkmcnt(0)
	s_and_b32 s4, s4, 0xffff
	s_delay_alu instid0(SALU_CYCLE_1) | instskip(SKIP_2) | instid1(VALU_DEP_1)
	s_mul_i32 s15, s15, s4
	s_mov_b32 s4, exec_lo
	v_add3_u32 v0, s15, s5, v0
	v_cmpx_gt_u64_e64 s[2:3], v[0:1]
	s_cbranch_execz .LBB0_13
; %bb.1:
	s_clause 0x1
	s_load_b64 s[4:5], s[0:1], 0x0
	s_load_b32 s6, s[0:1], 0x10
	s_waitcnt lgkmcnt(0)
	v_mad_u64_u32 v[2:3], null, v0, 3, s[4:5]
	v_and_b32_e64 v8, 0xff, s6
	s_add_u32 s4, s2, -1
	s_addc_u32 s5, s3, -1
	s_delay_alu instid0(SALU_CYCLE_1) | instskip(NEXT) | instid1(VALU_DEP_2)
	v_cmp_eq_u64_e32 vcc_lo, s[4:5], v[0:1]
	v_cmp_eq_u16_e64 s2, 1, v8
	global_load_u16 v4, v[2:3], off
	s_and_b32 s2, s2, vcc_lo
	v_cmp_ne_u16_e32 vcc_lo, 1, v8
	s_waitcnt vmcnt(0)
	v_lshrrev_b32_e32 v7, 8, v4
	v_lshlrev_b32_e32 v6, 4, v4
	v_bfe_u32 v4, v4, 2, 6
	s_delay_alu instid0(VALU_DEP_3) | instskip(NEXT) | instid1(VALU_DEP_1)
	v_lshrrev_b16 v5, 4, v7
	v_and_b32_e32 v5, 0xffff, v5
	s_delay_alu instid0(VALU_DEP_1) | instskip(SKIP_3) | instid1(VALU_DEP_1)
	v_cndmask_b32_e64 v5, v5, 0, s2
	s_getpc_b64 s[2:3]
	s_add_u32 s2, s2, __const._Z10base64_encPKhPhcmj.base64chars@rel32@lo+4
	s_addc_u32 s3, s3, __const._Z10base64_encPKhPhcmj.base64chars@rel32@hi+12
	v_and_or_b32 v5, v6, 48, v5
	global_load_i8 v6, v[2:3], off offset:2
	s_clause 0x1
	global_load_u8 v4, v4, s[2:3]
	global_load_u8 v5, v5, s[2:3]
	v_cmp_ne_u64_e64 s2, s[4:5], v[0:1]
	v_cmp_eq_u16_e64 s3, 0, v8
	s_mov_b32 s4, 0
                                        ; implicit-def: $vgpr2_vgpr3
	s_delay_alu instid0(VALU_DEP_1) | instskip(NEXT) | instid1(SALU_CYCLE_1)
	s_or_b32 s2, s3, s2
	s_and_saveexec_b32 s3, s2
	s_delay_alu instid0(SALU_CYCLE_1)
	s_xor_b32 s3, exec_lo, s3
	s_cbranch_execz .LBB0_3
; %bb.2:
	s_waitcnt vmcnt(2)
	v_lshrrev_b16 v2, 6, v6
	v_lshlrev_b32_e32 v3, 2, v7
	s_mov_b32 s4, exec_lo
	s_delay_alu instid0(VALU_DEP_2) | instskip(NEXT) | instid1(VALU_DEP_2)
	v_and_b32_e32 v2, 3, v2
	v_and_b32_e32 v7, 60, v3
	s_delay_alu instid0(VALU_DEP_2) | instskip(NEXT) | instid1(VALU_DEP_1)
	v_dual_mov_b32 v3, 0 :: v_dual_and_b32 v2, 0xffff, v2
	v_or_b32_e32 v2, v7, v2
                                        ; implicit-def: $vgpr7
.LBB0_3:
	s_or_saveexec_b32 s3, s3
                                        ; implicit-def: $sgpr5
	s_delay_alu instid0(SALU_CYCLE_1)
	s_xor_b32 exec_lo, exec_lo, s3
	s_cbranch_execz .LBB0_8
; %bb.4:
	s_and_b32 vcc_lo, exec_lo, vcc_lo
	s_cbranch_vccz .LBB0_6
; %bb.5:
	v_dual_mov_b32 v3, 0 :: v_dual_lshlrev_b32 v2, 2, v7
	s_or_b32 s5, s4, exec_lo
	s_delay_alu instid0(VALU_DEP_1)
	v_and_b32_e32 v2, 60, v2
	s_branch .LBB0_7
.LBB0_6:
	s_mov_b32 s5, s4
                                        ; implicit-def: $vgpr2_vgpr3
.LBB0_7:
	s_and_not1_b32 s4, s4, exec_lo
	s_and_b32 s6, s5, exec_lo
	s_mov_b32 s5, 61
	s_or_b32 s4, s4, s6
.LBB0_8:
	s_or_b32 exec_lo, exec_lo, s3
	s_load_b64 s[0:1], s[0:1], 0x8
	v_mov_b32_e32 v7, s5
	s_and_saveexec_b32 s3, s4
	s_cbranch_execz .LBB0_10
; %bb.9:
	s_getpc_b64 s[4:5]
	s_add_u32 s4, s4, __const._Z10base64_encPKhPhcmj.base64chars@rel32@lo+4
	s_addc_u32 s5, s5, __const._Z10base64_encPKhPhcmj.base64chars@rel32@hi+12
	v_add_co_u32 v2, vcc_lo, v2, s4
	v_add_co_ci_u32_e32 v3, vcc_lo, s5, v3, vcc_lo
	global_load_u8 v7, v[2:3], off
.LBB0_10:
	s_or_b32 exec_lo, exec_lo, s3
	v_mov_b32_e32 v2, 61
	s_and_saveexec_b32 s3, s2
	s_cbranch_execz .LBB0_12
; %bb.11:
	s_waitcnt vmcnt(2)
	v_and_b32_e32 v2, 63, v6
	s_getpc_b64 s[4:5]
	s_add_u32 s4, s4, __const._Z10base64_encPKhPhcmj.base64chars@rel32@lo+4
	s_addc_u32 s5, s5, __const._Z10base64_encPKhPhcmj.base64chars@rel32@hi+12
	s_delay_alu instid0(VALU_DEP_1) | instskip(NEXT) | instid1(VALU_DEP_1)
	v_add_co_u32 v2, s2, v2, s4
	v_add_co_ci_u32_e64 v3, null, 0, s5, s2
	global_load_u8 v2, v[2:3], off
.LBB0_12:
	s_or_b32 exec_lo, exec_lo, s3
	s_waitcnt vmcnt(0)
	v_lshlrev_b16 v3, 8, v5
	v_and_b32_e32 v4, 0xff, v4
	v_lshlrev_b16 v2, 8, v2
	v_and_b32_e32 v5, 0xff, v7
	v_lshlrev_b64 v[0:1], 2, v[0:1]
	s_delay_alu instid0(VALU_DEP_4) | instskip(NEXT) | instid1(VALU_DEP_3)
	v_or_b32_e32 v3, v4, v3
	v_or_b32_e32 v2, v5, v2
	s_waitcnt lgkmcnt(0)
	s_delay_alu instid0(VALU_DEP_3) | instskip(NEXT) | instid1(VALU_DEP_3)
	v_add_co_u32 v0, vcc_lo, s0, v0
	v_and_b32_e32 v3, 0xffff, v3
	s_delay_alu instid0(VALU_DEP_3) | instskip(SKIP_1) | instid1(VALU_DEP_2)
	v_lshlrev_b32_e32 v2, 16, v2
	v_add_co_ci_u32_e32 v1, vcc_lo, s1, v1, vcc_lo
	v_or_b32_e32 v2, v3, v2
	global_store_b32 v[0:1], v2, off
.LBB0_13:
	s_nop 0
	s_sendmsg sendmsg(MSG_DEALLOC_VGPRS)
	s_endpgm
	.section	.rodata,"a",@progbits
	.p2align	6, 0x0
	.amdhsa_kernel _Z10base64_encPKhPhcmj
		.amdhsa_group_segment_fixed_size 0
		.amdhsa_private_segment_fixed_size 0
		.amdhsa_kernarg_size 296
		.amdhsa_user_sgpr_count 15
		.amdhsa_user_sgpr_dispatch_ptr 0
		.amdhsa_user_sgpr_queue_ptr 0
		.amdhsa_user_sgpr_kernarg_segment_ptr 1
		.amdhsa_user_sgpr_dispatch_id 0
		.amdhsa_user_sgpr_private_segment_size 0
		.amdhsa_wavefront_size32 1
		.amdhsa_uses_dynamic_stack 0
		.amdhsa_enable_private_segment 0
		.amdhsa_system_sgpr_workgroup_id_x 1
		.amdhsa_system_sgpr_workgroup_id_y 0
		.amdhsa_system_sgpr_workgroup_id_z 0
		.amdhsa_system_sgpr_workgroup_info 0
		.amdhsa_system_vgpr_workitem_id 0
		.amdhsa_next_free_vgpr 9
		.amdhsa_next_free_sgpr 16
		.amdhsa_reserve_vcc 1
		.amdhsa_float_round_mode_32 0
		.amdhsa_float_round_mode_16_64 0
		.amdhsa_float_denorm_mode_32 3
		.amdhsa_float_denorm_mode_16_64 3
		.amdhsa_dx10_clamp 1
		.amdhsa_ieee_mode 1
		.amdhsa_fp16_overflow 0
		.amdhsa_workgroup_processor_mode 1
		.amdhsa_memory_ordered 1
		.amdhsa_forward_progress 0
		.amdhsa_shared_vgpr_count 0
		.amdhsa_exception_fp_ieee_invalid_op 0
		.amdhsa_exception_fp_denorm_src 0
		.amdhsa_exception_fp_ieee_div_zero 0
		.amdhsa_exception_fp_ieee_overflow 0
		.amdhsa_exception_fp_ieee_underflow 0
		.amdhsa_exception_fp_ieee_inexact 0
		.amdhsa_exception_int_div_zero 0
	.end_amdhsa_kernel
	.text
.Lfunc_end0:
	.size	_Z10base64_encPKhPhcmj, .Lfunc_end0-_Z10base64_encPKhPhcmj
                                        ; -- End function
	.section	.AMDGPU.csdata,"",@progbits
; Kernel info:
; codeLenInByte = 688
; NumSgprs: 18
; NumVgprs: 9
; ScratchSize: 0
; MemoryBound: 0
; FloatMode: 240
; IeeeMode: 1
; LDSByteSize: 0 bytes/workgroup (compile time only)
; SGPRBlocks: 2
; VGPRBlocks: 1
; NumSGPRsForWavesPerEU: 18
; NumVGPRsForWavesPerEU: 9
; Occupancy: 16
; WaveLimiterHint : 0
; COMPUTE_PGM_RSRC2:SCRATCH_EN: 0
; COMPUTE_PGM_RSRC2:USER_SGPR: 15
; COMPUTE_PGM_RSRC2:TRAP_HANDLER: 0
; COMPUTE_PGM_RSRC2:TGID_X_EN: 1
; COMPUTE_PGM_RSRC2:TGID_Y_EN: 0
; COMPUTE_PGM_RSRC2:TGID_Z_EN: 0
; COMPUTE_PGM_RSRC2:TIDIG_COMP_CNT: 0
	.text
	.p2alignl 7, 3214868480
	.fill 96, 4, 3214868480
	.type	__const._Z10base64_encPKhPhcmj.base64chars,@object ; @__const._Z10base64_encPKhPhcmj.base64chars
	.section	.rodata.str1.16,"aMS",@progbits,1
	.p2align	4, 0x0
__const._Z10base64_encPKhPhcmj.base64chars:
	.asciz	"ABCDEFGHIJKLMNOPQRSTUVWXYZabcdefghijklmnopqrstuvwxyz0123456789+/"
	.size	__const._Z10base64_encPKhPhcmj.base64chars, 65

	.type	__hip_cuid_ea401bd657079cb9,@object ; @__hip_cuid_ea401bd657079cb9
	.section	.bss,"aw",@nobits
	.globl	__hip_cuid_ea401bd657079cb9
__hip_cuid_ea401bd657079cb9:
	.byte	0                               ; 0x0
	.size	__hip_cuid_ea401bd657079cb9, 1

	.ident	"AMD clang version 19.0.0git (https://github.com/RadeonOpenCompute/llvm-project roc-6.4.0 25133 c7fe45cf4b819c5991fe208aaa96edf142730f1d)"
	.section	".note.GNU-stack","",@progbits
	.addrsig
	.addrsig_sym __hip_cuid_ea401bd657079cb9
	.amdgpu_metadata
---
amdhsa.kernels:
  - .args:
      - .actual_access:  read_only
        .address_space:  global
        .offset:         0
        .size:           8
        .value_kind:     global_buffer
      - .actual_access:  write_only
        .address_space:  global
        .offset:         8
        .size:           8
        .value_kind:     global_buffer
      - .offset:         16
        .size:           1
        .value_kind:     by_value
      - .offset:         24
        .size:           8
        .value_kind:     by_value
      - .offset:         32
        .size:           4
        .value_kind:     by_value
      - .offset:         40
        .size:           4
        .value_kind:     hidden_block_count_x
      - .offset:         44
        .size:           4
        .value_kind:     hidden_block_count_y
      - .offset:         48
        .size:           4
        .value_kind:     hidden_block_count_z
      - .offset:         52
        .size:           2
        .value_kind:     hidden_group_size_x
      - .offset:         54
        .size:           2
        .value_kind:     hidden_group_size_y
      - .offset:         56
        .size:           2
        .value_kind:     hidden_group_size_z
      - .offset:         58
        .size:           2
        .value_kind:     hidden_remainder_x
      - .offset:         60
        .size:           2
        .value_kind:     hidden_remainder_y
      - .offset:         62
        .size:           2
        .value_kind:     hidden_remainder_z
      - .offset:         80
        .size:           8
        .value_kind:     hidden_global_offset_x
      - .offset:         88
        .size:           8
        .value_kind:     hidden_global_offset_y
      - .offset:         96
        .size:           8
        .value_kind:     hidden_global_offset_z
      - .offset:         104
        .size:           2
        .value_kind:     hidden_grid_dims
    .group_segment_fixed_size: 0
    .kernarg_segment_align: 8
    .kernarg_segment_size: 296
    .language:       OpenCL C
    .language_version:
      - 2
      - 0
    .max_flat_workgroup_size: 1024
    .name:           _Z10base64_encPKhPhcmj
    .private_segment_fixed_size: 0
    .sgpr_count:     18
    .sgpr_spill_count: 0
    .symbol:         _Z10base64_encPKhPhcmj.kd
    .uniform_work_group_size: 1
    .uses_dynamic_stack: false
    .vgpr_count:     9
    .vgpr_spill_count: 0
    .wavefront_size: 32
    .workgroup_processor_mode: 1
amdhsa.target:   amdgcn-amd-amdhsa--gfx1100
amdhsa.version:
  - 1
  - 2
...

	.end_amdgpu_metadata
